;; amdgpu-corpus repo=ROCm/rocFFT kind=compiled arch=gfx1030 opt=O3
	.text
	.amdgcn_target "amdgcn-amd-amdhsa--gfx1030"
	.amdhsa_code_object_version 6
	.protected	bluestein_single_fwd_len1408_dim1_sp_op_CI_CI ; -- Begin function bluestein_single_fwd_len1408_dim1_sp_op_CI_CI
	.globl	bluestein_single_fwd_len1408_dim1_sp_op_CI_CI
	.p2align	8
	.type	bluestein_single_fwd_len1408_dim1_sp_op_CI_CI,@function
bluestein_single_fwd_len1408_dim1_sp_op_CI_CI: ; @bluestein_single_fwd_len1408_dim1_sp_op_CI_CI
; %bb.0:
	s_load_dwordx4 s[12:15], s[4:5], 0x28
	v_mul_u32_u24_e32 v1, 0x175, v0
	v_mov_b32_e32 v45, 0
	s_mov_b32 s0, exec_lo
	v_lshrrev_b32_e32 v1, 16, v1
	v_add_nc_u32_e32 v44, s6, v1
	s_waitcnt lgkmcnt(0)
	v_cmpx_gt_u64_e64 s[12:13], v[44:45]
	s_cbranch_execz .LBB0_10
; %bb.1:
	s_clause 0x1
	s_load_dwordx4 s[8:11], s[4:5], 0x18
	s_load_dwordx4 s[0:3], s[4:5], 0x0
	v_mul_lo_u16 v1, 0xb0, v1
	s_load_dwordx2 s[4:5], s[4:5], 0x38
                                        ; implicit-def: $vgpr69
                                        ; implicit-def: $vgpr36
	v_sub_nc_u16 v0, v0, v1
	v_and_b32_e32 v79, 0xffff, v0
	v_lshlrev_b32_e32 v80, 3, v79
	v_and_b32_e32 v27, 1, v79
	v_lshlrev_b32_e32 v84, 4, v79
	s_waitcnt lgkmcnt(0)
	s_load_dwordx4 s[16:19], s[8:9], 0x0
	s_clause 0x1
	global_load_dwordx2 v[53:54], v80, s[0:1]
	global_load_dwordx2 v[40:41], v80, s[0:1] offset:1408
	v_add_co_u32 v82, s6, s0, v80
	v_add_co_ci_u32_e64 v83, null, s1, 0, s6
	v_lshlrev_b32_e32 v29, 3, v27
	v_add_co_u32 v3, vcc_lo, 0x1000, v82
	v_add_co_ci_u32_e32 v4, vcc_lo, 0, v83, vcc_lo
	v_add_co_u32 v7, vcc_lo, 0x1800, v82
	v_add_co_ci_u32_e32 v8, vcc_lo, 0, v83, vcc_lo
	;; [unrolled: 2-line block ×3, first 2 shown]
	s_waitcnt lgkmcnt(0)
	v_mad_u64_u32 v[1:2], null, s18, v44, 0
	v_mad_u64_u32 v[5:6], null, s16, v79, 0
	s_mul_i32 s0, s17, 0x1600
	s_mul_hi_u32 s1, s16, 0x1600
	s_mul_i32 s6, s16, 0x1600
	s_add_i32 s1, s1, s0
	v_mad_u64_u32 v[11:12], null, s19, v44, v[2:3]
	v_mad_u64_u32 v[14:15], null, s17, v79, v[6:7]
	v_add_co_u32 v12, vcc_lo, 0x2000, v82
	v_add_co_ci_u32_e32 v13, vcc_lo, 0, v83, vcc_lo
	v_mov_b32_e32 v2, v11
	s_mul_hi_u32 s8, s16, 0xffffef80
	v_mov_b32_e32 v6, v14
	s_mul_i32 s7, s17, 0xffffef80
	s_mul_i32 s9, s16, 0xffffef80
	v_lshlrev_b64 v[1:2], 3, v[1:2]
	s_sub_i32 s0, s8, s16
	v_lshlrev_b64 v[5:6], 3, v[5:6]
	s_clause 0x3
	global_load_dwordx2 v[55:56], v[3:4], off offset:1536
	global_load_dwordx2 v[47:48], v[7:8], off offset:896
	;; [unrolled: 1-line block ×4, first 2 shown]
	s_add_i32 s0, s0, s7
	v_add_co_u32 v1, vcc_lo, s14, v1
	v_add_co_ci_u32_e32 v2, vcc_lo, s15, v2, vcc_lo
	v_add_nc_u32_e32 v71, 0xb0, v79
	v_add_co_u32 v1, vcc_lo, v1, v5
	v_add_co_ci_u32_e32 v2, vcc_lo, v2, v6, vcc_lo
	v_add_nc_u32_e32 v72, 0x210, v79
	v_add_co_u32 v5, vcc_lo, v1, s6
	v_add_co_ci_u32_e32 v6, vcc_lo, s1, v2, vcc_lo
	global_load_dwordx2 v[9:10], v[1:2], off
	v_add_co_u32 v7, vcc_lo, v5, s9
	v_add_co_ci_u32_e32 v8, vcc_lo, s0, v6, vcc_lo
	global_load_dwordx2 v[5:6], v[5:6], off
	v_add_co_u32 v1, vcc_lo, v7, s6
	v_add_co_ci_u32_e32 v2, vcc_lo, s1, v8, vcc_lo
	s_clause 0x1
	global_load_dwordx2 v[7:8], v[7:8], off
	global_load_dwordx2 v[16:17], v[1:2], off
	v_add_co_u32 v14, vcc_lo, v1, s9
	v_add_co_ci_u32_e32 v15, vcc_lo, s0, v2, vcc_lo
	v_add_co_u32 v1, vcc_lo, v14, s6
	v_add_co_ci_u32_e32 v2, vcc_lo, s1, v15, vcc_lo
	global_load_dwordx2 v[14:15], v[14:15], off
	v_add_co_u32 v18, vcc_lo, v1, s9
	v_add_co_ci_u32_e32 v19, vcc_lo, s0, v2, vcc_lo
	global_load_dwordx2 v[20:21], v[1:2], off
	v_add_co_u32 v1, vcc_lo, v18, s6
	v_add_co_ci_u32_e32 v2, vcc_lo, s1, v19, vcc_lo
	global_load_dwordx2 v[49:50], v[3:4], off offset:128
	global_load_dwordx2 v[18:19], v[18:19], off
	global_load_dwordx2 v[51:52], v[12:13], off offset:1664
	global_load_dwordx2 v[11:12], v[1:2], off
	v_add_nc_u32_e32 v4, 0x1400, v80
	v_add_nc_u32_e32 v2, 0x1a00, v80
	;; [unrolled: 1-line block ×4, first 2 shown]
	s_load_dwordx4 s[8:11], s[10:11], 0x0
	v_cmp_gt_u16_e32 vcc_lo, 0x80, v0
	s_waitcnt vmcnt(9)
	v_mul_f32_e32 v22, v10, v54
	v_mul_f32_e32 v13, v9, v54
	v_fmac_f32_e32 v22, v9, v53
	s_waitcnt vmcnt(8)
	v_mul_f32_e32 v9, v6, v56
	v_mul_f32_e32 v25, v5, v56
	v_fma_f32 v23, v10, v53, -v13
	v_fmac_f32_e32 v9, v5, v55
	s_waitcnt vmcnt(7)
	v_mul_f32_e32 v24, v8, v41
	v_mul_f32_e32 v13, v7, v41
	v_fma_f32 v10, v6, v55, -v25
	s_waitcnt vmcnt(6)
	v_mul_f32_e32 v5, v17, v48
	v_mul_f32_e32 v6, v16, v48
	v_fmac_f32_e32 v24, v7, v40
	v_fma_f32 v25, v8, v40, -v13
	v_fmac_f32_e32 v5, v16, v47
	v_fma_f32 v6, v17, v47, -v6
	s_waitcnt vmcnt(5)
	v_mul_f32_e32 v7, v15, v46
	v_mul_f32_e32 v8, v14, v46
	s_waitcnt vmcnt(4)
	v_mul_f32_e32 v13, v21, v43
	v_fmac_f32_e32 v7, v14, v45
	v_mul_f32_e32 v14, v20, v43
	v_fma_f32 v8, v15, v45, -v8
	s_waitcnt vmcnt(2)
	v_mul_f32_e32 v15, v19, v50
	v_mul_f32_e32 v16, v18, v50
	v_fmac_f32_e32 v13, v20, v42
	s_waitcnt vmcnt(0)
	v_mul_f32_e32 v17, v12, v52
	v_mul_f32_e32 v20, v11, v52
	v_fma_f32 v14, v21, v42, -v14
	v_fmac_f32_e32 v15, v18, v49
	v_fma_f32 v16, v19, v49, -v16
	v_fmac_f32_e32 v17, v11, v51
	v_fma_f32 v18, v12, v51, -v20
	ds_write_b64 v80, v[9:10] offset:5632
	ds_write2_b64 v80, v[22:23], v[24:25] offset1:176
	ds_write2_b64 v2, v[5:6], v[13:14] offset0:48 offset1:224
	ds_write2_b64 v1, v[7:8], v[15:16] offset0:32 offset1:208
	ds_write_b64 v80, v[17:18] offset:9856
	s_waitcnt lgkmcnt(0)
	s_barrier
	buffer_gl0_inv
	ds_read2_b64 v[5:8], v80 offset1:176
	ds_read2_b64 v[9:12], v4 offset0:64 offset1:240
	ds_read2_b64 v[13:16], v1 offset0:32 offset1:208
	;; [unrolled: 1-line block ×3, first 2 shown]
	v_lshlrev_b32_e32 v2, 1, v79
	s_waitcnt lgkmcnt(0)
	s_barrier
	buffer_gl0_inv
	v_lshlrev_b32_e32 v28, 3, v2
	v_add_nc_u32_e32 v73, 0x2c0, v2
	v_sub_f32_e32 v21, v5, v9
	v_sub_f32_e32 v22, v6, v10
	;; [unrolled: 1-line block ×8, first 2 shown]
	v_fma_f32 v19, v5, 2.0, -v21
	v_fma_f32 v20, v6, 2.0, -v22
	;; [unrolled: 1-line block ×8, first 2 shown]
	ds_write_b128 v84, v[19:22]
	ds_write_b128 v84, v[7:10] offset:2816
	ds_write_b128 v28, v[23:26] offset:5632
	;; [unrolled: 1-line block ×3, first 2 shown]
	s_waitcnt lgkmcnt(0)
	s_barrier
	buffer_gl0_inv
	global_load_dwordx2 v[57:58], v29, s[2:3]
	ds_read2_b64 v[7:10], v4 offset0:64 offset1:240
	v_lshlrev_b32_e32 v5, 1, v71
	v_lshlrev_b32_e32 v6, 1, v72
	ds_read2_b64 v[11:14], v3 offset0:32 offset1:208
	v_and_or_b32 v15, 0x1fc, v2, v27
	v_and_or_b32 v17, 0x7fc, v73, v27
	v_and_or_b32 v16, 0x3fc, v5, v27
	v_and_or_b32 v18, 0x7fc, v6, v27
	v_and_b32_e32 v23, 3, v79
	v_lshlrev_b32_e32 v88, 3, v15
	v_lshlrev_b32_e32 v86, 3, v17
	v_lshlrev_b32_e32 v87, 3, v16
	v_lshlrev_b32_e32 v85, 3, v18
	ds_read2_b64 v[15:18], v80 offset1:176
	ds_read2_b64 v[19:22], v1 offset0:32 offset1:208
	v_lshlrev_b32_e32 v24, 3, v23
	s_waitcnt vmcnt(0) lgkmcnt(0)
	s_barrier
	buffer_gl0_inv
	v_mul_f32_e32 v25, v8, v58
	v_mul_f32_e32 v26, v7, v58
	v_mul_f32_e32 v27, v10, v58
	v_mul_f32_e32 v28, v9, v58
	v_mul_f32_e32 v29, v12, v58
	v_mul_f32_e32 v30, v11, v58
	v_mul_f32_e32 v31, v14, v58
	v_mul_f32_e32 v32, v13, v58
	v_fma_f32 v7, v7, v57, -v25
	v_fmac_f32_e32 v26, v8, v57
	v_fma_f32 v9, v9, v57, -v27
	v_fmac_f32_e32 v28, v10, v57
	v_fma_f32 v11, v11, v57, -v29
	v_fmac_f32_e32 v30, v12, v57
	v_fma_f32 v13, v13, v57, -v31
	v_fmac_f32_e32 v32, v14, v57
	v_sub_f32_e32 v7, v15, v7
	v_sub_f32_e32 v8, v16, v26
	v_sub_f32_e32 v9, v17, v9
	v_sub_f32_e32 v10, v18, v28
	v_sub_f32_e32 v11, v19, v11
	v_sub_f32_e32 v12, v20, v30
	v_sub_f32_e32 v13, v21, v13
	v_sub_f32_e32 v14, v22, v32
	v_fma_f32 v15, v15, 2.0, -v7
	v_fma_f32 v16, v16, 2.0, -v8
	v_fma_f32 v17, v17, 2.0, -v9
	v_fma_f32 v18, v18, 2.0, -v10
	v_fma_f32 v19, v19, 2.0, -v11
	v_fma_f32 v20, v20, 2.0, -v12
	v_fma_f32 v21, v21, 2.0, -v13
	v_fma_f32 v22, v22, 2.0, -v14
	ds_write2_b64 v88, v[15:16], v[7:8] offset1:2
	ds_write2_b64 v87, v[17:18], v[9:10] offset1:2
	ds_write2_b64 v86, v[19:20], v[11:12] offset1:2
	ds_write2_b64 v85, v[21:22], v[13:14] offset1:2
	s_waitcnt lgkmcnt(0)
	s_barrier
	buffer_gl0_inv
	global_load_dwordx2 v[59:60], v24, s[2:3] offset:16
	ds_read2_b64 v[7:10], v4 offset0:64 offset1:240
	ds_read2_b64 v[11:14], v3 offset0:32 offset1:208
	v_and_or_b32 v15, 0x1f8, v2, v23
	v_and_or_b32 v16, 0x3f8, v5, v23
	v_and_or_b32 v17, 0x7f8, v73, v23
	v_and_or_b32 v18, 0x7f8, v6, v23
	v_and_b32_e32 v24, 7, v79
	v_lshlrev_b32_e32 v92, 3, v15
	v_lshlrev_b32_e32 v91, 3, v16
	v_lshlrev_b32_e32 v90, 3, v17
	v_lshlrev_b32_e32 v89, 3, v18
	ds_read2_b64 v[15:18], v80 offset1:176
	ds_read2_b64 v[19:22], v1 offset0:32 offset1:208
	v_lshlrev_b32_e32 v23, 3, v24
	s_waitcnt vmcnt(0) lgkmcnt(0)
	s_barrier
	buffer_gl0_inv
	v_mul_f32_e32 v25, v8, v60
	v_mul_f32_e32 v26, v7, v60
	v_mul_f32_e32 v27, v10, v60
	v_mul_f32_e32 v28, v9, v60
	v_mul_f32_e32 v29, v12, v60
	v_mul_f32_e32 v30, v11, v60
	v_mul_f32_e32 v31, v14, v60
	v_mul_f32_e32 v32, v13, v60
	v_fma_f32 v7, v7, v59, -v25
	v_fmac_f32_e32 v26, v8, v59
	v_fma_f32 v9, v9, v59, -v27
	v_fmac_f32_e32 v28, v10, v59
	v_fma_f32 v11, v11, v59, -v29
	v_fmac_f32_e32 v30, v12, v59
	v_fma_f32 v13, v13, v59, -v31
	v_fmac_f32_e32 v32, v14, v59
	v_sub_f32_e32 v7, v15, v7
	v_sub_f32_e32 v8, v16, v26
	v_sub_f32_e32 v9, v17, v9
	v_sub_f32_e32 v10, v18, v28
	v_sub_f32_e32 v11, v19, v11
	v_sub_f32_e32 v12, v20, v30
	v_sub_f32_e32 v13, v21, v13
	v_sub_f32_e32 v14, v22, v32
	v_fma_f32 v15, v15, 2.0, -v7
	v_fma_f32 v16, v16, 2.0, -v8
	v_fma_f32 v17, v17, 2.0, -v9
	v_fma_f32 v18, v18, 2.0, -v10
	v_fma_f32 v19, v19, 2.0, -v11
	v_fma_f32 v20, v20, 2.0, -v12
	v_fma_f32 v21, v21, 2.0, -v13
	v_fma_f32 v22, v22, 2.0, -v14
	ds_write2_b64 v92, v[15:16], v[7:8] offset1:4
	ds_write2_b64 v91, v[17:18], v[9:10] offset1:4
	ds_write2_b64 v90, v[19:20], v[11:12] offset1:4
	ds_write2_b64 v89, v[21:22], v[13:14] offset1:4
	s_waitcnt lgkmcnt(0)
	s_barrier
	buffer_gl0_inv
	global_load_dwordx2 v[61:62], v23, s[2:3] offset:48
	ds_read2_b64 v[7:10], v4 offset0:64 offset1:240
	;; [unrolled: 57-line block ×3, first 2 shown]
	ds_read2_b64 v[11:14], v3 offset0:32 offset1:208
	v_and_or_b32 v15, 0x1e0, v2, v23
	v_and_or_b32 v16, 0x3e0, v5, v23
	;; [unrolled: 1-line block ×4, first 2 shown]
	v_and_b32_e32 v27, 31, v72
	v_lshlrev_b32_e32 v103, 3, v15
	v_lshlrev_b32_e32 v102, 3, v16
	;; [unrolled: 1-line block ×4, first 2 shown]
	ds_read2_b64 v[15:18], v80 offset1:176
	ds_read2_b64 v[19:22], v1 offset0:32 offset1:208
	v_and_b32_e32 v24, 31, v79
	v_and_b32_e32 v25, 31, v71
	v_lshlrev_b32_e32 v23, 3, v27
	s_waitcnt vmcnt(0) lgkmcnt(0)
	s_barrier
	v_lshlrev_b32_e32 v26, 3, v24
	buffer_gl0_inv
	v_and_or_b32 v2, 0x1c0, v2, v24
	v_lshlrev_b32_e32 v107, 3, v2
	v_mul_f32_e32 v28, v8, v64
	v_mul_f32_e32 v29, v7, v64
	;; [unrolled: 1-line block ×8, first 2 shown]
	v_fma_f32 v7, v7, v63, -v28
	v_fmac_f32_e32 v29, v8, v63
	v_fma_f32 v9, v9, v63, -v30
	v_fmac_f32_e32 v31, v10, v63
	;; [unrolled: 2-line block ×4, first 2 shown]
	v_sub_f32_e32 v7, v15, v7
	v_sub_f32_e32 v8, v16, v29
	;; [unrolled: 1-line block ×8, first 2 shown]
	v_fma_f32 v15, v15, 2.0, -v7
	v_fma_f32 v16, v16, 2.0, -v8
	;; [unrolled: 1-line block ×8, first 2 shown]
	ds_write2_b64 v103, v[15:16], v[7:8] offset1:16
	ds_write2_b64 v102, v[17:18], v[9:10] offset1:16
	;; [unrolled: 1-line block ×4, first 2 shown]
	v_lshlrev_b32_e32 v7, 3, v25
	s_waitcnt lgkmcnt(0)
	s_barrier
	buffer_gl0_inv
	s_clause 0x3
	global_load_dwordx2 v[65:66], v23, s[2:3] offset:240
	global_load_dwordx2 v[67:68], v26, s[2:3] offset:240
	global_load_dword v99, v23, s[2:3] offset:244
	global_load_dword v98, v7, s[2:3] offset:240
	ds_read2_b64 v[7:10], v4 offset0:64 offset1:240
	ds_read2_b64 v[11:14], v3 offset0:32 offset1:208
	v_and_or_b32 v3, 0x3c0, v5, v25
	v_and_or_b32 v4, 0x7c0, v73, v24
	;; [unrolled: 1-line block ×3, first 2 shown]
	v_lshlrev_b32_e32 v106, 3, v3
	v_lshlrev_b32_e32 v105, 3, v4
	;; [unrolled: 1-line block ×3, first 2 shown]
	ds_read2_b64 v[2:5], v80 offset1:176
	ds_read2_b64 v[15:18], v1 offset0:32 offset1:208
	s_waitcnt vmcnt(0) lgkmcnt(0)
	s_barrier
	buffer_gl0_inv
	v_mul_f32_e32 v6, v10, v66
	v_mul_f32_e32 v0, v8, v68
	;; [unrolled: 1-line block ×8, first 2 shown]
	v_fma_f32 v0, v7, v67, -v0
	v_fmac_f32_e32 v1, v8, v67
	v_fma_f32 v6, v9, v98, -v6
	v_fmac_f32_e32 v19, v10, v98
	;; [unrolled: 2-line block ×4, first 2 shown]
	v_sub_f32_e32 v26, v2, v0
	v_sub_f32_e32 v27, v3, v1
	;; [unrolled: 1-line block ×8, first 2 shown]
	v_fma_f32 v24, v2, 2.0, -v26
	v_fma_f32 v25, v3, 2.0, -v27
	;; [unrolled: 1-line block ×8, first 2 shown]
	ds_write2_b64 v107, v[24:25], v[26:27] offset1:32
	ds_write2_b64 v106, v[20:21], v[22:23] offset1:32
	;; [unrolled: 1-line block ×4, first 2 shown]
	s_waitcnt lgkmcnt(0)
	s_barrier
	buffer_gl0_inv
	s_and_saveexec_b32 s0, vcc_lo
	s_cbranch_execz .LBB0_3
; %bb.2:
	ds_read2st64_b64 v[24:27], v80 offset1:2
	ds_read2st64_b64 v[20:23], v80 offset0:4 offset1:6
	ds_read2st64_b64 v[28:31], v80 offset0:8 offset1:10
	ds_read2st64_b64 v[32:35], v80 offset0:12 offset1:14
	ds_read2st64_b64 v[36:39], v80 offset0:16 offset1:18
	ds_read_b64 v[69:70], v80 offset:10240
.LBB0_3:
	s_or_b32 exec_lo, exec_lo, s0
	v_and_b32_e32 v81, 63, v79
	v_lshlrev_b32_e32 v110, 4, v71
	v_lshlrev_b32_e32 v108, 4, v72
	;; [unrolled: 1-line block ×3, first 2 shown]
	v_mad_u64_u32 v[16:17], null, 0x50, v81, s[2:3]
	s_clause 0x4
	global_load_dwordx4 v[12:15], v[16:17], off offset:496
	global_load_dwordx4 v[4:7], v[16:17], off offset:512
	;; [unrolled: 1-line block ×5, first 2 shown]
	s_waitcnt vmcnt(0) lgkmcnt(0)
	s_barrier
	buffer_gl0_inv
	v_mul_f32_e32 v74, v27, v13
	v_mul_f32_e32 v120, v26, v13
	;; [unrolled: 1-line block ×8, first 2 shown]
	v_fma_f32 v119, v26, v12, -v74
	v_fmac_f32_e32 v120, v27, v12
	v_fma_f32 v26, v69, v18, -v125
	v_fmac_f32_e32 v71, v70, v18
	v_mul_f32_e32 v78, v23, v5
	v_mul_f32_e32 v116, v22, v5
	;; [unrolled: 1-line block ×5, first 2 shown]
	v_fma_f32 v117, v20, v14, -v77
	v_fmac_f32_e32 v118, v21, v14
	v_fma_f32 v27, v38, v16, -v124
	v_fmac_f32_e32 v72, v39, v16
	v_sub_f32_e32 v158, v119, v26
	v_sub_f32_e32 v150, v120, v71
	v_mul_f32_e32 v112, v28, v7
	v_mul_f32_e32 v113, v31, v1
	;; [unrolled: 1-line block ×4, first 2 shown]
	v_fma_f32 v115, v22, v4, -v78
	v_fmac_f32_e32 v116, v23, v4
	v_fma_f32 v114, v28, v6, -v93
	v_fma_f32 v28, v36, v10, -v123
	v_fmac_f32_e32 v73, v37, v10
	v_add_f32_e32 v37, v119, v26
	v_add_f32_e32 v39, v120, v71
	v_sub_f32_e32 v156, v117, v27
	v_sub_f32_e32 v149, v118, v72
	v_mul_f32_e32 v126, 0xbf0a6770, v150
	v_mul_f32_e32 v129, 0xbf0a6770, v158
	;; [unrolled: 1-line block ×9, first 2 shown]
	v_fmac_f32_e32 v112, v29, v6
	v_fma_f32 v113, v30, v0, -v113
	v_fma_f32 v30, v34, v8, -v122
	v_fmac_f32_e32 v75, v35, v8
	v_add_f32_e32 v35, v117, v27
	v_add_f32_e32 v38, v118, v72
	v_sub_f32_e32 v153, v115, v28
	v_sub_f32_e32 v148, v116, v73
	v_mul_f32_e32 v125, 0xbf68dda4, v149
	v_mul_f32_e32 v127, 0xbf68dda4, v156
	;; [unrolled: 1-line block ×6, first 2 shown]
	v_fmamk_f32 v20, v37, 0x3f575c64, v126
	v_fma_f32 v21, 0x3f575c64, v39, -v129
	v_fmamk_f32 v77, v37, 0x3ed4b147, v133
	v_fma_f32 v159, 0x3ed4b147, v39, -v140
	;; [unrolled: 2-line block ×3, first 2 shown]
	v_fmac_f32_e32 v111, v31, v0
	v_fma_f32 v74, v32, v2, -v121
	v_fmac_f32_e32 v76, v33, v2
	v_add_f32_e32 v33, v115, v28
	v_add_f32_e32 v36, v116, v73
	v_sub_f32_e32 v151, v114, v30
	v_sub_f32_e32 v144, v112, v75
	v_mul_f32_e32 v122, 0xbf7d64f0, v148
	v_mul_f32_e32 v124, 0xbf7d64f0, v153
	;; [unrolled: 1-line block ×6, first 2 shown]
	v_fmamk_f32 v22, v35, 0x3ed4b147, v125
	v_fma_f32 v23, 0x3ed4b147, v38, -v127
	v_fmamk_f32 v162, v35, 0xbf27a4f4, v132
	v_fma_f32 v165, 0xbf27a4f4, v38, -v139
	;; [unrolled: 2-line block ×3, first 2 shown]
	v_add_f32_e32 v20, v24, v20
	v_add_f32_e32 v21, v25, v21
	;; [unrolled: 1-line block ×8, first 2 shown]
	v_sub_f32_e32 v145, v113, v74
	v_sub_f32_e32 v143, v111, v76
	v_mul_f32_e32 v70, 0xbf4178ce, v144
	v_mul_f32_e32 v123, 0xbf4178ce, v151
	;; [unrolled: 1-line block ×6, first 2 shown]
	v_fmamk_f32 v78, v33, 0xbe11bafb, v122
	v_fma_f32 v93, 0xbe11bafb, v36, -v124
	v_fmamk_f32 v166, v33, 0xbf75a155, v130
	v_fma_f32 v167, 0xbf75a155, v36, -v137
	;; [unrolled: 2-line block ×3, first 2 shown]
	v_add_f32_e32 v20, v22, v20
	v_add_f32_e32 v21, v23, v21
	v_add_f32_e32 v22, v162, v77
	v_add_f32_e32 v23, v165, v159
	v_add_f32_e32 v77, v173, v172
	v_add_f32_e32 v159, v178, v177
	v_add_f32_e32 v29, v113, v74
	v_add_f32_e32 v32, v111, v76
	v_mul_f32_e32 v69, 0xbe903f40, v143
	v_mul_f32_e32 v121, 0xbe903f40, v145
	;; [unrolled: 1-line block ×6, first 2 shown]
	v_fmamk_f32 v160, v31, 0xbf27a4f4, v70
	v_fma_f32 v161, 0xbf27a4f4, v34, -v123
	v_fmamk_f32 v168, v31, 0xbe11bafb, v131
	v_fma_f32 v169, 0xbe11bafb, v34, -v135
	;; [unrolled: 2-line block ×3, first 2 shown]
	v_add_f32_e32 v20, v78, v20
	v_add_f32_e32 v21, v93, v21
	;; [unrolled: 1-line block ×6, first 2 shown]
	v_fmamk_f32 v163, v29, 0xbf75a155, v69
	v_fma_f32 v164, 0xbf75a155, v32, -v121
	v_fmamk_f32 v170, v29, 0x3f575c64, v128
	v_fma_f32 v171, 0x3f575c64, v32, -v134
	;; [unrolled: 2-line block ×3, first 2 shown]
	v_add_f32_e32 v20, v160, v20
	v_add_f32_e32 v21, v161, v21
	;; [unrolled: 1-line block ×12, first 2 shown]
	v_lshrrev_b32_e32 v93, 6, v79
	s_and_saveexec_b32 s0, vcc_lo
	s_cbranch_execz .LBB0_5
; %bb.4:
	v_mul_f32_e32 v159, 0xbf75a155, v39
	v_mul_f32_e32 v161, 0x3f575c64, v38
	;; [unrolled: 1-line block ×5, first 2 shown]
	v_fmamk_f32 v160, v158, 0x3e903f40, v159
	v_fmamk_f32 v189, v156, 0xbf0a6770, v161
	v_mul_f32_e32 v164, 0x3ed4b147, v37
	v_fmamk_f32 v196, v37, 0xbf75a155, v193
	v_mul_f32_e32 v197, 0x3f0a6770, v149
	v_add_f32_e32 v160, v25, v160
	v_mul_f32_e32 v198, 0xbe11bafb, v32
	v_mul_f32_e32 v170, 0xbf27a4f4, v35
	v_sub_f32_e32 v133, v164, v133
	v_add_f32_e32 v196, v24, v196
	v_add_f32_e32 v160, v189, v160
	v_fmamk_f32 v189, v153, 0x3f4178ce, v190
	v_fmamk_f32 v199, v35, 0x3f575c64, v197
	v_mul_f32_e32 v200, 0xbf4178ce, v148
	v_fmac_f32_e32 v159, 0xbe903f40, v158
	v_mul_f32_e32 v176, 0xbf75a155, v33
	v_add_f32_e32 v160, v189, v160
	v_fmamk_f32 v189, v151, 0xbf68dda4, v194
	v_add_f32_e32 v133, v24, v133
	v_sub_f32_e32 v132, v170, v132
	v_add_f32_e32 v196, v199, v196
	v_fmamk_f32 v199, v33, 0xbf27a4f4, v200
	v_add_f32_e32 v160, v189, v160
	v_fmamk_f32 v189, v145, 0x3f7d64f0, v198
	v_add_f32_e32 v201, v25, v159
	v_fmac_f32_e32 v161, 0x3f0a6770, v156
	v_add_f32_e32 v132, v132, v133
	v_sub_f32_e32 v130, v176, v130
	v_add_f32_e32 v159, v189, v160
	v_mul_f32_e32 v160, 0x3f68dda4, v144
	v_fma_f32 v189, 0xbf75a155, v37, -v193
	v_add_f32_e32 v193, v199, v196
	v_add_f32_e32 v161, v161, v201
	v_fmac_f32_e32 v190, 0xbf4178ce, v153
	v_fmamk_f32 v196, v31, 0x3ed4b147, v160
	v_add_f32_e32 v189, v24, v189
	v_fma_f32 v197, 0x3f575c64, v35, -v197
	v_add_f32_e32 v130, v130, v132
	v_add_f32_e32 v132, v25, v120
	v_mul_f32_e32 v199, 0xbf7d64f0, v143
	v_add_f32_e32 v161, v190, v161
	v_fmac_f32_e32 v194, 0x3f68dda4, v151
	v_add_f32_e32 v190, v196, v193
	v_add_f32_e32 v189, v197, v189
	v_fma_f32 v193, 0xbf27a4f4, v33, -v200
	v_add_f32_e32 v118, v132, v118
	v_fmamk_f32 v196, v29, 0xbe11bafb, v199
	v_add_f32_e32 v161, v194, v161
	v_mul_f32_e32 v194, 0xbf4178ce, v158
	v_add_f32_e32 v189, v193, v189
	v_fma_f32 v160, 0x3ed4b147, v31, -v160
	v_add_f32_e32 v116, v118, v116
	v_add_f32_e32 v119, v24, v119
	;; [unrolled: 1-line block ×3, first 2 shown]
	v_fmamk_f32 v190, v39, 0xbf27a4f4, v194
	v_mul_f32_e32 v156, 0x3f7d64f0, v156
	v_add_f32_e32 v160, v160, v189
	v_fma_f32 v189, 0xbe11bafb, v29, -v199
	v_mul_f32_e32 v150, 0xbf4178ce, v150
	v_add_f32_e32 v112, v116, v112
	v_add_f32_e32 v117, v119, v117
	v_mul_f32_e32 v167, 0xbe11bafb, v39
	v_add_f32_e32 v190, v25, v190
	v_fmamk_f32 v193, v38, 0xbe11bafb, v156
	v_mul_f32_e32 v153, 0xbf0a6770, v153
	v_add_f32_e32 v160, v189, v160
	v_fma_f32 v189, 0xbf27a4f4, v37, -v150
	v_mul_f32_e32 v149, 0x3f7d64f0, v149
	v_add_f32_e32 v111, v112, v111
	v_add_f32_e32 v115, v117, v115
	v_mul_f32_e32 v173, 0xbf75a155, v38
	v_add_f32_e32 v190, v193, v190
	v_fmamk_f32 v193, v36, 0x3f575c64, v153
	v_mul_f32_e32 v151, 0xbe903f40, v151
	v_add_f32_e32 v189, v24, v189
	v_fma_f32 v196, 0xbe11bafb, v35, -v149
	v_mul_f32_e32 v148, 0xbf0a6770, v148
	v_add_f32_e32 v157, v157, v167
	v_mul_f32_e32 v162, 0x3f575c64, v37
	v_mul_f32_e32 v163, 0x3f575c64, v39
	;; [unrolled: 1-line block ×3, first 2 shown]
	v_add_f32_e32 v76, v111, v76
	v_add_f32_e32 v114, v115, v114
	v_mul_f32_e32 v166, 0xbe11bafb, v37
	v_mul_f32_e32 v179, 0x3ed4b147, v36
	v_fmac_f32_e32 v198, 0xbf7d64f0, v145
	v_add_f32_e32 v190, v193, v190
	v_fmamk_f32 v167, v34, 0xbf75a155, v151
	v_add_f32_e32 v189, v196, v189
	v_fma_f32 v193, 0x3f575c64, v33, -v148
	v_mul_f32_e32 v196, 0xbe903f40, v144
	v_add_f32_e32 v144, v25, v157
	v_add_f32_e32 v155, v155, v173
	v_mul_f32_e32 v145, 0x3f68dda4, v145
	v_mul_f32_e32 v168, 0x3ed4b147, v35
	;; [unrolled: 1-line block ×3, first 2 shown]
	v_add_f32_e32 v140, v140, v165
	v_add_f32_e32 v129, v129, v163
	v_sub_f32_e32 v126, v162, v126
	v_add_f32_e32 v75, v76, v75
	v_add_f32_e32 v76, v114, v113
	v_fma_f32 v39, 0xbf27a4f4, v39, -v194
	v_mul_f32_e32 v171, 0xbf27a4f4, v38
	v_mul_f32_e32 v172, 0xbf75a155, v35
	v_add_f32_e32 v157, v193, v189
	v_fma_f32 v173, 0xbf75a155, v31, -v196
	v_mul_f32_e32 v189, 0x3f68dda4, v143
	v_add_f32_e32 v143, v155, v144
	v_add_f32_e32 v144, v154, v179
	;; [unrolled: 1-line block ×3, first 2 shown]
	v_fmamk_f32 v155, v32, 0x3ed4b147, v145
	v_sub_f32_e32 v147, v166, v147
	v_fmac_f32_e32 v150, 0xbf27a4f4, v37
	v_mul_f32_e32 v174, 0xbe11bafb, v33
	v_mul_f32_e32 v175, 0xbe11bafb, v36
	v_add_f32_e32 v140, v25, v140
	v_add_f32_e32 v129, v25, v129
	;; [unrolled: 1-line block ×4, first 2 shown]
	v_sub_f32_e32 v125, v168, v125
	v_add_f32_e32 v37, v76, v74
	v_add_f32_e32 v25, v25, v39
	v_fma_f32 v38, 0xbe11bafb, v38, -v156
	v_mul_f32_e32 v177, 0xbf75a155, v36
	v_mul_f32_e32 v178, 0x3ed4b147, v33
	v_add_f32_e32 v157, v173, v157
	v_add_f32_e32 v173, v144, v143
	;; [unrolled: 1-line block ×4, first 2 shown]
	v_sub_f32_e32 v142, v172, v142
	v_add_f32_e32 v154, v139, v171
	v_add_f32_e32 v24, v24, v150
	v_fmac_f32_e32 v149, 0xbe11bafb, v35
	v_mul_f32_e32 v180, 0xbf27a4f4, v31
	v_mul_f32_e32 v181, 0xbf27a4f4, v34
	v_add_f32_e32 v118, v127, v129
	v_add_f32_e32 v124, v124, v175
	;; [unrolled: 1-line block ×3, first 2 shown]
	v_sub_f32_e32 v116, v174, v122
	v_add_f32_e32 v30, v37, v30
	v_add_f32_e32 v35, v38, v25
	v_fma_f32 v36, 0x3f575c64, v36, -v153
	v_mul_f32_e32 v182, 0xbe11bafb, v31
	v_mul_f32_e32 v183, 0xbe11bafb, v34
	;; [unrolled: 1-line block ×4, first 2 shown]
	v_add_f32_e32 v142, v142, v147
	v_sub_f32_e32 v141, v178, v141
	v_add_f32_e32 v140, v154, v140
	v_add_f32_e32 v137, v137, v177
	;; [unrolled: 1-line block ×3, first 2 shown]
	v_fmac_f32_e32 v148, 0x3f575c64, v33
	v_mul_f32_e32 v186, 0xbf75a155, v29
	v_mul_f32_e32 v187, 0xbf75a155, v32
	v_add_f32_e32 v118, v124, v118
	v_add_f32_e32 v119, v123, v181
	;; [unrolled: 1-line block ×3, first 2 shown]
	v_sub_f32_e32 v70, v180, v70
	v_add_f32_e32 v73, v75, v73
	v_add_f32_e32 v28, v30, v28
	;; [unrolled: 1-line block ×3, first 2 shown]
	v_fma_f32 v33, 0xbf75a155, v34, -v151
	v_mul_u32_u24_e32 v34, 0x2c0, v93
	v_mul_f32_e32 v188, 0x3f575c64, v29
	v_mul_f32_e32 v191, 0x3f575c64, v32
	;; [unrolled: 1-line block ×4, first 2 shown]
	v_add_f32_e32 v152, v152, v185
	v_add_f32_e32 v141, v141, v142
	v_sub_f32_e32 v138, v184, v138
	v_add_f32_e32 v137, v137, v140
	v_add_f32_e32 v135, v135, v183
	v_sub_f32_e32 v131, v182, v131
	v_add_f32_e32 v24, v148, v24
	v_fmac_f32_e32 v196, 0xbf75a155, v31
	v_add_f32_e32 v116, v119, v118
	v_add_f32_e32 v111, v121, v187
	;; [unrolled: 1-line block ×3, first 2 shown]
	v_sub_f32_e32 v69, v186, v69
	v_add_f32_e32 v39, v73, v72
	v_add_f32_e32 v27, v28, v27
	;; [unrolled: 1-line block ×3, first 2 shown]
	v_or_b32_e32 v30, v34, v81
	v_add_f32_e32 v152, v152, v173
	v_add_f32_e32 v146, v146, v195
	;; [unrolled: 1-line block ×3, first 2 shown]
	v_sub_f32_e32 v136, v192, v136
	v_add_f32_e32 v135, v135, v137
	v_add_f32_e32 v134, v134, v191
	;; [unrolled: 1-line block ×3, first 2 shown]
	v_sub_f32_e32 v128, v188, v128
	v_fma_f32 v167, 0x3ed4b147, v29, -v189
	v_fma_f32 v31, 0x3ed4b147, v32, -v145
	v_add_f32_e32 v32, v196, v24
	v_fmac_f32_e32 v189, 0x3ed4b147, v29
	v_add_f32_e32 v70, v111, v116
	v_add_f32_e32 v69, v69, v112
	;; [unrolled: 1-line block ×4, first 2 shown]
	v_lshlrev_b32_e32 v29, 3, v30
	v_add_f32_e32 v139, v146, v152
	v_add_f32_e32 v138, v136, v133
	;; [unrolled: 1-line block ×8, first 2 shown]
	ds_write2st64_b64 v29, v[24:25], v[69:70] offset1:1
	ds_write2st64_b64 v29, v[119:120], v[138:139] offset0:2 offset1:3
	ds_write2st64_b64 v29, v[143:144], v[160:161] offset0:4 offset1:5
	;; [unrolled: 1-line block ×4, first 2 shown]
	ds_write_b64 v29, v[77:78] offset:5120
.LBB0_5:
	s_or_b32 exec_lo, exec_lo, s0
	v_add_co_u32 v28, s0, s2, v80
	v_add_co_ci_u32_e64 v29, null, s3, 0, s0
	s_waitcnt lgkmcnt(0)
	v_add_co_u32 v24, s0, 0x1000, v28
	v_add_co_ci_u32_e64 v25, s0, 0, v29, s0
	v_add_co_u32 v26, s0, 0x1800, v28
	v_add_co_ci_u32_e64 v27, s0, 0, v29, s0
	;; [unrolled: 2-line block ×3, first 2 shown]
	s_barrier
	buffer_gl0_inv
	s_clause 0x3
	global_load_dwordx2 v[71:72], v[24:25], off offset:1520
	global_load_dwordx2 v[69:70], v[26:27], off offset:880
	;; [unrolled: 1-line block ×4, first 2 shown]
	v_add_nc_u32_e32 v26, 0x1400, v80
	v_add_nc_u32_e32 v24, 0x2000, v80
	ds_read2_b64 v[27:30], v26 offset0:64 offset1:240
	ds_read2_b64 v[31:34], v24 offset0:32 offset1:208
	v_add_nc_u32_e32 v25, 0xa00, v80
	ds_read2_b64 v[35:38], v80 offset1:176
	v_add_nc_u32_e32 v127, 0x1a00, v80
	v_add_nc_u32_e32 v128, 0x400, v80
	;; [unrolled: 1-line block ×3, first 2 shown]
	ds_read2_b64 v[111:114], v25 offset0:32 offset1:208
	s_waitcnt vmcnt(3) lgkmcnt(3)
	v_mul_f32_e32 v39, v28, v72
	v_mul_f32_e32 v115, v27, v72
	s_waitcnt vmcnt(2)
	v_mul_f32_e32 v116, v30, v70
	v_mul_f32_e32 v117, v29, v70
	s_waitcnt vmcnt(1) lgkmcnt(2)
	v_mul_f32_e32 v118, v32, v74
	v_mul_f32_e32 v119, v31, v74
	s_waitcnt vmcnt(0)
	v_mul_f32_e32 v120, v34, v76
	v_mul_f32_e32 v121, v33, v76
	v_fma_f32 v27, v27, v71, -v39
	v_fmac_f32_e32 v115, v28, v71
	v_fma_f32 v29, v29, v69, -v116
	v_fmac_f32_e32 v117, v30, v69
	;; [unrolled: 2-line block ×4, first 2 shown]
	s_waitcnt lgkmcnt(1)
	v_sub_f32_e32 v27, v35, v27
	v_sub_f32_e32 v28, v36, v115
	;; [unrolled: 1-line block ×4, first 2 shown]
	s_waitcnt lgkmcnt(0)
	v_sub_f32_e32 v31, v111, v31
	v_sub_f32_e32 v32, v112, v119
	;; [unrolled: 1-line block ×4, first 2 shown]
	v_add_co_u32 v115, s0, 0x2800, v82
	v_add_co_ci_u32_e64 v116, s0, 0, v83, s0
	v_fma_f32 v35, v35, 2.0, -v27
	v_fma_f32 v36, v36, 2.0, -v28
	v_fma_f32 v37, v37, 2.0, -v29
	v_fma_f32 v38, v38, 2.0, -v30
	v_fma_f32 v111, v111, 2.0, -v31
	v_fma_f32 v112, v112, 2.0, -v32
	v_fma_f32 v113, v113, 2.0, -v33
	v_fma_f32 v114, v114, 2.0, -v34
	ds_write_b64 v80, v[27:28] offset:5632
	ds_write2_b64 v80, v[35:36], v[37:38] offset1:176
	ds_write2_b64 v127, v[29:30], v[31:32] offset0:48 offset1:224
	ds_write2_b64 v25, v[111:112], v[113:114] offset0:32 offset1:208
	ds_write_b64 v80, v[33:34] offset:9856
	s_waitcnt lgkmcnt(0)
	s_barrier
	buffer_gl0_inv
	global_load_dwordx2 v[31:32], v[115:116], off offset:1024
	v_add_co_u32 v27, s0, 0x2c00, v82
	v_add_co_ci_u32_e64 v28, s0, 0, v83, s0
	v_add_co_u32 v29, s0, 0x4000, v82
	v_add_co_ci_u32_e64 v30, s0, 0, v83, s0
	;; [unrolled: 2-line block ×3, first 2 shown]
	s_clause 0x2
	global_load_dwordx2 v[115:116], v[29:30], off offset:512
	global_load_dwordx2 v[117:118], v[29:30], off offset:1920
	;; [unrolled: 1-line block ×3, first 2 shown]
	v_add_co_u32 v27, s0, 0x4800, v82
	v_add_co_ci_u32_e64 v28, s0, 0, v83, s0
	v_add_co_u32 v29, s0, 0x3800, v82
	v_add_co_ci_u32_e64 v30, s0, 0, v83, s0
	global_load_dwordx2 v[121:122], v[33:34], off offset:1792
	v_add_co_u32 v33, s0, 0x5000, v82
	v_add_co_ci_u32_e64 v34, s0, 0, v83, s0
	s_clause 0x2
	global_load_dwordx2 v[82:83], v[27:28], off offset:1280
	global_load_dwordx2 v[123:124], v[29:30], off offset:1152
	;; [unrolled: 1-line block ×3, first 2 shown]
	ds_read2_b64 v[27:30], v80 offset1:176
	s_waitcnt vmcnt(7) lgkmcnt(0)
	v_mul_f32_e32 v34, v28, v32
	v_mul_f32_e32 v33, v27, v32
	v_fma_f32 v32, v27, v31, -v34
	v_fmac_f32_e32 v33, v28, v31
	ds_write_b64 v80, v[32:33]
	ds_read2_b64 v[31:34], v26 offset0:64 offset1:240
	ds_read2_b64 v[35:38], v25 offset0:32 offset1:208
	;; [unrolled: 1-line block ×3, first 2 shown]
	s_waitcnt vmcnt(4)
	v_mul_f32_e32 v27, v30, v120
	v_mul_f32_e32 v28, v29, v120
	v_fma_f32 v27, v29, v119, -v27
	v_fmac_f32_e32 v28, v30, v119
	s_waitcnt lgkmcnt(2)
	v_mul_f32_e32 v29, v32, v116
	v_mul_f32_e32 v30, v31, v116
	;; [unrolled: 1-line block ×4, first 2 shown]
	s_waitcnt vmcnt(3) lgkmcnt(1)
	v_mul_f32_e32 v130, v36, v122
	v_mul_f32_e32 v118, v35, v122
	s_waitcnt vmcnt(2) lgkmcnt(0)
	v_mul_f32_e32 v122, v112, v83
	v_mul_f32_e32 v120, v111, v83
	s_waitcnt vmcnt(1)
	v_mul_f32_e32 v131, v38, v124
	v_mul_f32_e32 v83, v37, v124
	s_waitcnt vmcnt(0)
	v_mul_f32_e32 v124, v114, v126
	v_mul_f32_e32 v39, v113, v126
	v_fma_f32 v29, v31, v115, -v29
	v_fmac_f32_e32 v30, v32, v115
	v_fma_f32 v115, v33, v117, -v119
	v_fmac_f32_e32 v116, v34, v117
	;; [unrolled: 2-line block ×6, first 2 shown]
	ds_write2_b64 v128, v[27:28], v[117:118] offset0:48 offset1:224
	ds_write2_b64 v127, v[115:116], v[119:120] offset0:48 offset1:224
	;; [unrolled: 1-line block ×3, first 2 shown]
	ds_write_b64 v80, v[38:39] offset:9856
	s_waitcnt lgkmcnt(0)
	s_barrier
	buffer_gl0_inv
	ds_read2_b64 v[27:30], v80 offset1:176
	ds_read2_b64 v[31:34], v26 offset0:64 offset1:240
	ds_read2_b64 v[35:38], v25 offset0:32 offset1:208
	;; [unrolled: 1-line block ×3, first 2 shown]
	s_waitcnt lgkmcnt(0)
	s_barrier
	buffer_gl0_inv
	v_sub_f32_e32 v115, v27, v31
	v_sub_f32_e32 v116, v28, v32
	;; [unrolled: 1-line block ×8, first 2 shown]
	v_fma_f32 v113, v27, 2.0, -v115
	v_fma_f32 v114, v28, 2.0, -v116
	v_fma_f32 v29, v29, 2.0, -v31
	v_fma_f32 v30, v30, 2.0, -v32
	v_fma_f32 v117, v35, 2.0, -v119
	v_fma_f32 v118, v36, 2.0, -v120
	v_fma_f32 v121, v37, 2.0, -v123
	v_fma_f32 v122, v38, 2.0, -v124
	ds_write_b128 v84, v[113:116]
	ds_write_b128 v110, v[29:32]
	;; [unrolled: 1-line block ×4, first 2 shown]
	s_waitcnt lgkmcnt(0)
	s_barrier
	buffer_gl0_inv
	ds_read2_b64 v[27:30], v26 offset0:64 offset1:240
	ds_read2_b64 v[31:34], v24 offset0:32 offset1:208
	ds_read2_b64 v[35:38], v80 offset1:176
	ds_read2_b64 v[108:111], v25 offset0:32 offset1:208
	s_waitcnt lgkmcnt(0)
	s_barrier
	buffer_gl0_inv
	v_mul_f32_e32 v39, v58, v28
	v_mul_f32_e32 v82, v58, v27
	v_mul_f32_e32 v83, v58, v30
	v_mul_f32_e32 v84, v58, v29
	v_mul_f32_e32 v112, v58, v32
	v_mul_f32_e32 v113, v58, v31
	v_mul_f32_e32 v114, v58, v34
	v_mul_f32_e32 v58, v58, v33
	v_fmac_f32_e32 v39, v57, v27
	v_fma_f32 v28, v57, v28, -v82
	v_fmac_f32_e32 v83, v57, v29
	v_fma_f32 v30, v57, v30, -v84
	v_fmac_f32_e32 v112, v57, v31
	v_fma_f32 v32, v57, v32, -v113
	v_fmac_f32_e32 v114, v57, v33
	v_fma_f32 v34, v57, v34, -v58
	v_sub_f32_e32 v27, v35, v39
	v_sub_f32_e32 v28, v36, v28
	v_sub_f32_e32 v29, v37, v83
	v_sub_f32_e32 v30, v38, v30
	v_sub_f32_e32 v31, v108, v112
	v_sub_f32_e32 v32, v109, v32
	v_sub_f32_e32 v33, v110, v114
	v_sub_f32_e32 v34, v111, v34
	v_fma_f32 v35, v35, 2.0, -v27
	v_fma_f32 v36, v36, 2.0, -v28
	v_fma_f32 v37, v37, 2.0, -v29
	v_fma_f32 v38, v38, 2.0, -v30
	v_fma_f32 v57, v108, 2.0, -v31
	v_fma_f32 v58, v109, 2.0, -v32
	v_fma_f32 v82, v110, 2.0, -v33
	v_fma_f32 v83, v111, 2.0, -v34
	ds_write2_b64 v88, v[35:36], v[27:28] offset1:2
	ds_write2_b64 v87, v[37:38], v[29:30] offset1:2
	ds_write2_b64 v86, v[57:58], v[31:32] offset1:2
	ds_write2_b64 v85, v[82:83], v[33:34] offset1:2
	s_waitcnt lgkmcnt(0)
	s_barrier
	buffer_gl0_inv
	ds_read2_b64 v[27:30], v26 offset0:64 offset1:240
	ds_read2_b64 v[31:34], v24 offset0:32 offset1:208
	ds_read2_b64 v[35:38], v80 offset1:176
	ds_read2_b64 v[82:85], v25 offset0:32 offset1:208
	s_waitcnt lgkmcnt(0)
	s_barrier
	buffer_gl0_inv
	v_mul_f32_e32 v39, v60, v28
	v_mul_f32_e32 v57, v60, v27
	v_mul_f32_e32 v58, v60, v30
	v_mul_f32_e32 v86, v60, v29
	v_mul_f32_e32 v87, v60, v32
	v_mul_f32_e32 v88, v60, v31
	v_mul_f32_e32 v108, v60, v34
	v_mul_f32_e32 v60, v60, v33
	v_fmac_f32_e32 v39, v59, v27
	v_fma_f32 v28, v59, v28, -v57
	v_fmac_f32_e32 v58, v59, v29
	v_fma_f32 v30, v59, v30, -v86
	v_fmac_f32_e32 v87, v59, v31
	v_fma_f32 v32, v59, v32, -v88
	v_fmac_f32_e32 v108, v59, v33
	v_fma_f32 v34, v59, v34, -v60
	v_sub_f32_e32 v27, v35, v39
	v_sub_f32_e32 v28, v36, v28
	v_sub_f32_e32 v29, v37, v58
	v_sub_f32_e32 v30, v38, v30
	v_sub_f32_e32 v31, v82, v87
	v_sub_f32_e32 v32, v83, v32
	v_sub_f32_e32 v33, v84, v108
	v_sub_f32_e32 v34, v85, v34
	v_fma_f32 v35, v35, 2.0, -v27
	v_fma_f32 v36, v36, 2.0, -v28
	v_fma_f32 v37, v37, 2.0, -v29
	v_fma_f32 v38, v38, 2.0, -v30
	v_fma_f32 v57, v82, 2.0, -v31
	v_fma_f32 v58, v83, 2.0, -v32
	v_fma_f32 v59, v84, 2.0, -v33
	v_fma_f32 v60, v85, 2.0, -v34
	ds_write2_b64 v92, v[35:36], v[27:28] offset1:4
	ds_write2_b64 v91, v[37:38], v[29:30] offset1:4
	ds_write2_b64 v90, v[57:58], v[31:32] offset1:4
	ds_write2_b64 v89, v[59:60], v[33:34] offset1:4
	;; [unrolled: 46-line block ×5, first 2 shown]
	s_waitcnt lgkmcnt(0)
	s_barrier
	buffer_gl0_inv
	s_and_saveexec_b32 s0, vcc_lo
	s_cbranch_execz .LBB0_7
; %bb.6:
	ds_read2st64_b64 v[24:27], v80 offset1:2
	ds_read2st64_b64 v[36:39], v80 offset0:4 offset1:6
	ds_read2st64_b64 v[28:31], v80 offset0:8 offset1:10
	;; [unrolled: 1-line block ×4, first 2 shown]
	ds_read_b64 v[77:78], v80 offset:10240
.LBB0_7:
	s_or_b32 exec_lo, exec_lo, s0
	s_waitcnt lgkmcnt(0)
	s_barrier
	buffer_gl0_inv
	s_and_saveexec_b32 s0, vcc_lo
	s_cbranch_execz .LBB0_9
; %bb.8:
	v_mul_f32_e32 v57, v13, v27
	v_mul_f32_e32 v58, v19, v78
	v_mul_f32_e32 v59, v15, v37
	v_mul_f32_e32 v60, v17, v23
	v_mul_f32_e32 v19, v19, v77
	v_fmac_f32_e32 v57, v12, v26
	v_fmac_f32_e32 v58, v18, v77
	v_mul_f32_e32 v26, v13, v26
	v_fmac_f32_e32 v59, v14, v36
	v_fmac_f32_e32 v60, v16, v22
	v_mul_f32_e32 v17, v17, v22
	v_sub_f32_e32 v13, v57, v58
	v_mul_f32_e32 v15, v15, v36
	v_fma_f32 v18, v18, v78, -v19
	v_fma_f32 v19, v12, v27, -v26
	v_sub_f32_e32 v12, v59, v60
	v_fma_f32 v16, v16, v23, -v17
	v_fma_f32 v14, v14, v37, -v15
	v_mul_f32_e32 v15, 0xbe903f40, v13
	v_add_f32_e32 v17, v18, v19
	v_mul_f32_e32 v22, 0x3f0a6770, v12
	v_mul_f32_e32 v36, v5, v39
	v_add_f32_e32 v23, v16, v14
	v_mul_f32_e32 v37, v11, v21
	v_fmamk_f32 v26, v17, 0xbf75a155, v15
	v_mul_f32_e32 v11, v11, v20
	v_mul_f32_e32 v5, v5, v38
	v_fmamk_f32 v27, v23, 0x3f575c64, v22
	v_fmac_f32_e32 v36, v4, v38
	v_add_f32_e32 v26, v25, v26
	v_fmac_f32_e32 v37, v10, v20
	v_fma_f32 v10, v10, v21, -v11
	v_fma_f32 v11, v4, v39, -v5
	v_mul_f32_e32 v4, v9, v34
	v_add_f32_e32 v20, v27, v26
	v_mul_f32_e32 v26, v7, v29
	v_mul_f32_e32 v27, v9, v35
	v_sub_f32_e32 v39, v19, v18
	v_sub_f32_e32 v38, v36, v37
	v_mul_f32_e32 v5, v7, v28
	v_fmac_f32_e32 v26, v6, v28
	v_fmac_f32_e32 v27, v8, v34
	v_fma_f32 v28, v8, v35, -v4
	v_mul_f32_e32 v35, v3, v33
	v_add_f32_e32 v61, v58, v57
	v_mul_f32_e32 v62, 0xbe903f40, v39
	v_sub_f32_e32 v63, v14, v16
	v_mul_f32_e32 v7, 0xbf4178ce, v38
	v_add_f32_e32 v9, v10, v11
	v_sub_f32_e32 v21, v26, v27
	v_fma_f32 v29, v6, v29, -v5
	v_mul_f32_e32 v34, v1, v31
	v_fmac_f32_e32 v35, v2, v32
	v_fma_f32 v64, 0xbf75a155, v61, -v62
	v_add_f32_e32 v65, v60, v59
	v_mul_f32_e32 v66, 0x3f0a6770, v63
	v_mul_f32_e32 v3, v3, v32
	v_sub_f32_e32 v32, v11, v10
	v_mul_f32_e32 v1, v1, v30
	v_fmamk_f32 v4, v9, 0xbf27a4f4, v7
	v_mul_f32_e32 v5, 0x3f68dda4, v21
	v_add_f32_e32 v8, v28, v29
	v_fmac_f32_e32 v34, v0, v30
	v_add_f32_e32 v30, v24, v64
	v_fma_f32 v64, 0x3f575c64, v65, -v66
	v_add_f32_e32 v67, v37, v36
	v_mul_f32_e32 v68, 0xbf4178ce, v32
	v_fma_f32 v33, v2, v33, -v3
	v_sub_f32_e32 v77, v29, v28
	v_fma_f32 v31, v0, v31, -v1
	v_add_f32_e32 v4, v4, v20
	v_fmamk_f32 v6, v8, 0x3ed4b147, v5
	v_sub_f32_e32 v20, v34, v35
	v_add_f32_e32 v0, v64, v30
	v_fma_f32 v1, 0xbf27a4f4, v67, -v68
	v_add_f32_e32 v30, v27, v26
	v_mul_f32_e32 v2, 0x3f68dda4, v77
	v_sub_f32_e32 v78, v31, v33
	v_add_f32_e32 v4, v6, v4
	v_mul_f32_e32 v6, 0xbf7d64f0, v20
	v_add_f32_e32 v64, v33, v31
	v_add_f32_e32 v0, v1, v0
	v_fma_f32 v1, 0xbf75a155, v17, -v15
	v_fma_f32 v3, 0x3ed4b147, v30, -v2
	v_add_f32_e32 v82, v35, v34
	v_mul_f32_e32 v15, 0xbf7d64f0, v78
	v_fmamk_f32 v83, v64, 0xbe11bafb, v6
	v_add_f32_e32 v84, v25, v1
	v_fma_f32 v22, 0x3f575c64, v23, -v22
	v_add_f32_e32 v0, v3, v0
	v_fma_f32 v3, 0xbe11bafb, v82, -v15
	v_fmac_f32_e32 v62, 0xbf75a155, v61
	v_add_f32_e32 v1, v83, v4
	v_add_f32_e32 v4, v22, v84
	v_fma_f32 v7, 0xbf27a4f4, v9, -v7
	v_add_f32_e32 v0, v3, v0
	v_add_f32_e32 v3, v24, v62
	v_fmac_f32_e32 v66, 0x3f575c64, v65
	v_fma_f32 v5, 0x3ed4b147, v8, -v5
	v_add_f32_e32 v4, v7, v4
	v_fmac_f32_e32 v68, 0xbf27a4f4, v67
	v_fmac_f32_e32 v2, 0x3ed4b147, v30
	v_add_f32_e32 v3, v66, v3
	v_fma_f32 v6, 0xbe11bafb, v64, -v6
	v_add_f32_e32 v4, v5, v4
	v_mul_f32_e32 v83, 0xbf4178ce, v39
	v_mul_f32_e32 v22, 0xbf27a4f4, v17
	v_add_f32_e32 v3, v68, v3
	v_mul_f32_e32 v84, 0x3f7d64f0, v63
	v_mul_f32_e32 v62, 0xbe11bafb, v23
	v_fmac_f32_e32 v15, 0xbe11bafb, v82
	v_fmamk_f32 v7, v13, 0x3f4178ce, v22
	v_add_f32_e32 v2, v2, v3
	v_add_f32_e32 v3, v6, v4
	v_fmamk_f32 v4, v61, 0xbf27a4f4, v83
	v_mul_f32_e32 v86, 0xbe11bafb, v17
	v_fmamk_f32 v6, v65, 0xbe11bafb, v84
	v_mul_f32_e32 v87, 0xbf0a6770, v32
	v_add_f32_e32 v5, v25, v7
	v_add_f32_e32 v4, v24, v4
	v_fmamk_f32 v7, v12, 0xbf7d64f0, v62
	v_mul_f32_e32 v66, 0x3f575c64, v9
	v_add_f32_e32 v2, v15, v2
	v_fmamk_f32 v15, v13, 0x3f7d64f0, v86
	v_mul_f32_e32 v88, 0xbf75a155, v23
	;; [unrolled: 3-line block ×9, first 2 shown]
	v_add_f32_e32 v5, v7, v5
	v_fmamk_f32 v7, v20, 0xbf68dda4, v85
	v_add_f32_e32 v15, v90, v15
	v_fmamk_f32 v90, v21, 0x3f0a6770, v94
	;; [unrolled: 2-line block ×3, first 2 shown]
	v_mul_f32_e32 v96, 0x3e903f40, v63
	v_mul_f32_e32 v97, 0x3ed4b147, v17
	v_add_f32_e32 v5, v7, v5
	v_add_f32_e32 v7, v90, v15
	;; [unrolled: 1-line block ×3, first 2 shown]
	v_fmamk_f32 v15, v65, 0xbf75a155, v96
	v_mul_f32_e32 v98, 0x3f68dda4, v32
	v_fmamk_f32 v100, v13, 0x3f68dda4, v97
	v_mul_f32_e32 v101, 0xbf27a4f4, v23
	v_mul_f32_e32 v90, 0xbf27a4f4, v64
	v_add_f32_e32 v6, v15, v6
	v_fmamk_f32 v15, v67, 0x3ed4b147, v98
	v_mul_f32_e32 v102, 0xbf0a6770, v77
	v_add_f32_e32 v100, v25, v100
	v_fmamk_f32 v103, v12, 0x3f4178ce, v101
	v_mul_f32_e32 v104, 0xbf75a155, v9
	v_fmamk_f32 v99, v20, 0x3f4178ce, v90
	v_add_f32_e32 v6, v15, v6
	v_fmamk_f32 v15, v30, 0x3f575c64, v102
	v_mul_f32_e32 v105, 0xbf4178ce, v78
	v_add_f32_e32 v100, v103, v100
	v_fmamk_f32 v103, v38, 0xbe903f40, v104
	v_mul_f32_e32 v106, 0xbe11bafb, v8
	v_mul_f32_e32 v107, 0xbf68dda4, v39
	v_add_f32_e32 v6, v15, v6
	v_fmamk_f32 v15, v82, 0xbf27a4f4, v105
	v_add_f32_e32 v100, v103, v100
	v_fmamk_f32 v103, v21, 0xbf7d64f0, v106
	;; [unrolled: 2-line block ×3, first 2 shown]
	v_mul_f32_e32 v108, 0xbf4178ce, v63
	v_add_f32_e32 v6, v15, v6
	v_add_f32_e32 v15, v103, v100
	v_mul_f32_e32 v100, 0x3f575c64, v17
	v_add_f32_e32 v17, v24, v99
	v_fmamk_f32 v99, v65, 0xbf27a4f4, v108
	v_mul_f32_e32 v103, 0x3e903f40, v32
	v_mul_f32_e32 v111, 0x3f7d64f0, v77
	;; [unrolled: 1-line block ×3, first 2 shown]
	v_fmamk_f32 v110, v13, 0x3f0a6770, v100
	v_add_f32_e32 v17, v99, v17
	v_fmamk_f32 v99, v67, 0xbf75a155, v103
	v_mul_f32_e32 v23, 0x3ed4b147, v23
	v_mul_f32_e32 v113, 0xbe11bafb, v9
	v_add_f32_e32 v19, v19, v25
	v_add_f32_e32 v110, v25, v110
	;; [unrolled: 1-line block ×3, first 2 shown]
	v_fmamk_f32 v17, v30, 0xbe11bafb, v111
	v_mul_f32_e32 v99, 0x3f0a6770, v78
	v_fmamk_f32 v112, v12, 0x3f68dda4, v23
	v_mul_f32_e32 v114, 0xbf27a4f4, v8
	v_fmamk_f32 v8, v20, 0xbf0a6770, v109
	v_add_f32_e32 v17, v17, v9
	v_fmamk_f32 v115, v82, 0x3f575c64, v99
	v_mul_f32_e32 v39, 0xbf0a6770, v39
	v_add_f32_e32 v14, v14, v19
	v_add_f32_e32 v110, v112, v110
	v_fmamk_f32 v112, v38, 0x3f7d64f0, v113
	v_add_f32_e32 v9, v8, v15
	v_add_f32_e32 v8, v115, v17
	;; [unrolled: 1-line block ×3, first 2 shown]
	v_fmamk_f32 v19, v61, 0x3f575c64, v39
	v_mul_f32_e32 v57, 0xbf68dda4, v63
	v_add_f32_e32 v11, v11, v14
	v_add_f32_e32 v110, v112, v110
	v_fmamk_f32 v112, v21, 0x3f4178ce, v114
	v_mul_f32_e32 v63, 0xbf75a155, v64
	v_add_f32_e32 v14, v59, v17
	v_add_f32_e32 v17, v24, v19
	;; [unrolled: 4-line block ×3, first 2 shown]
	v_add_f32_e32 v14, v36, v14
	v_fmamk_f32 v29, v20, 0x3e903f40, v63
	v_add_f32_e32 v17, v19, v17
	v_fmamk_f32 v19, v67, 0xbe11bafb, v32
	v_add_f32_e32 v31, v31, v11
	v_add_f32_e32 v14, v26, v14
	;; [unrolled: 1-line block ×3, first 2 shown]
	v_mul_f32_e32 v26, 0xbf4178ce, v77
	v_add_f32_e32 v15, v19, v17
	v_add_f32_e32 v17, v33, v31
	v_mul_f32_e32 v29, 0xbe903f40, v78
	v_fmac_f32_e32 v22, 0xbf4178ce, v13
	v_fmamk_f32 v19, v30, 0xbf27a4f4, v26
	v_fmac_f32_e32 v62, 0x3f7d64f0, v12
	v_add_f32_e32 v17, v28, v17
	v_add_f32_e32 v14, v34, v14
	;; [unrolled: 1-line block ×4, first 2 shown]
	v_fmamk_f32 v19, v82, 0xbf75a155, v29
	v_add_f32_e32 v17, v10, v17
	v_fmac_f32_e32 v66, 0xbf0a6770, v38
	v_add_f32_e32 v22, v62, v22
	v_fmac_f32_e32 v86, 0xbf7d64f0, v13
	v_add_f32_e32 v10, v19, v15
	v_add_f32_e32 v15, v16, v17
	v_fma_f32 v16, 0xbf27a4f4, v61, -v83
	v_add_f32_e32 v14, v35, v14
	v_add_f32_e32 v17, v66, v22
	v_fma_f32 v19, 0xbe11bafb, v61, -v95
	;; [unrolled: 3-line block ×3, first 2 shown]
	v_add_f32_e32 v22, v25, v86
	v_fmac_f32_e32 v88, 0x3e903f40, v12
	v_add_f32_e32 v14, v27, v14
	v_add_f32_e32 v19, v24, v19
	;; [unrolled: 1-line block ×3, first 2 shown]
	v_fma_f32 v18, 0x3f575c64, v67, -v87
	v_fma_f32 v27, 0xbf75a155, v65, -v96
	v_add_f32_e32 v22, v88, v22
	v_fmac_f32_e32 v91, 0x3f68dda4, v38
	v_fmac_f32_e32 v94, 0xbf0a6770, v21
	v_add_f32_e32 v16, v18, v16
	v_fma_f32 v18, 0xbf75a155, v30, -v89
	v_add_f32_e32 v19, v27, v19
	v_fma_f32 v27, 0x3ed4b147, v67, -v98
	v_add_f32_e32 v22, v91, v22
	v_fmac_f32_e32 v90, 0xbf4178ce, v20
	v_add_f32_e32 v16, v18, v16
	v_fma_f32 v18, 0x3ed4b147, v82, -v92
	v_fma_f32 v28, 0x3ed4b147, v61, -v107
	v_add_f32_e32 v22, v94, v22
	v_fmac_f32_e32 v97, 0xbf68dda4, v13
	v_fmac_f32_e32 v100, 0xbf0a6770, v13
	v_add_f32_e32 v16, v18, v16
	v_add_f32_e32 v18, v27, v19
	v_fma_f32 v19, 0x3f575c64, v30, -v102
	v_add_f32_e32 v27, v25, v97
	v_fmac_f32_e32 v101, 0xbf4178ce, v12
	v_add_f32_e32 v25, v25, v100
	v_fmac_f32_e32 v23, 0xbf68dda4, v12
	v_add_f32_e32 v18, v19, v18
	v_add_f32_e32 v19, v90, v22
	;; [unrolled: 1-line block ×3, first 2 shown]
	v_fma_f32 v28, 0xbf27a4f4, v65, -v108
	v_add_f32_e32 v27, v101, v27
	v_fmac_f32_e32 v104, 0x3e903f40, v38
	v_add_f32_e32 v14, v37, v14
	v_add_f32_e32 v23, v23, v25
	;; [unrolled: 1-line block ×3, first 2 shown]
	v_fma_f32 v22, 0xbf75a155, v67, -v103
	v_fma_f32 v28, 0x3f575c64, v61, -v39
	v_fmac_f32_e32 v113, 0xbf7d64f0, v38
	v_fmac_f32_e32 v68, 0xbe903f40, v21
	v_add_f32_e32 v27, v104, v27
	v_add_f32_e32 v12, v22, v13
	;; [unrolled: 1-line block ×3, first 2 shown]
	v_fma_f32 v22, 0x3ed4b147, v65, -v57
	v_fma_f32 v24, 0xbe11bafb, v30, -v111
	v_fmac_f32_e32 v106, 0x3f7d64f0, v21
	v_add_f32_e32 v14, v60, v14
	v_add_f32_e32 v23, v113, v23
	;; [unrolled: 1-line block ×3, first 2 shown]
	v_fma_f32 v22, 0xbe11bafb, v67, -v32
	v_add_f32_e32 v12, v24, v12
	v_mul_u32_u24_e32 v24, 0x2c0, v93
	v_fmac_f32_e32 v114, 0xbf4178ce, v21
	v_fma_f32 v21, 0xbf27a4f4, v30, -v26
	v_add_f32_e32 v13, v22, v13
	v_add_f32_e32 v17, v68, v17
	v_or_b32_e32 v24, v24, v81
	v_fmac_f32_e32 v85, 0x3f68dda4, v20
	v_fma_f32 v31, 0xbf27a4f4, v82, -v105
	v_add_f32_e32 v27, v106, v27
	v_fmac_f32_e32 v109, 0x3f0a6770, v20
	v_fma_f32 v22, 0x3f575c64, v82, -v99
	v_add_f32_e32 v14, v58, v14
	v_add_f32_e32 v23, v114, v23
	v_fmac_f32_e32 v63, 0xbe903f40, v20
	v_add_f32_e32 v20, v21, v13
	v_fma_f32 v25, 0xbf75a155, v82, -v29
	v_lshlrev_b32_e32 v24, 3, v24
	v_add_f32_e32 v17, v85, v17
	v_add_f32_e32 v18, v31, v18
	;; [unrolled: 1-line block ×6, first 2 shown]
	ds_write2st64_b64 v24, v[14:15], v[10:11] offset1:1
	ds_write2st64_b64 v24, v[8:9], v[6:7] offset0:2 offset1:3
	ds_write2st64_b64 v24, v[4:5], v[2:3] offset0:4 offset1:5
	;; [unrolled: 1-line block ×4, first 2 shown]
	ds_write_b64 v24, v[20:21] offset:5120
.LBB0_9:
	s_or_b32 exec_lo, exec_lo, s0
	v_add_nc_u32_e32 v16, 0x1400, v80
	v_add_nc_u32_e32 v24, 0x2000, v80
	s_waitcnt lgkmcnt(0)
	s_barrier
	buffer_gl0_inv
	ds_read2_b64 v[0:3], v16 offset0:64 offset1:240
	ds_read2_b64 v[4:7], v24 offset0:32 offset1:208
	v_add_nc_u32_e32 v25, 0xa00, v80
	ds_read2_b64 v[8:11], v80 offset1:176
	v_add_nc_u32_e32 v17, 0x1a00, v80
	s_mov_b32 s0, 0x745d1746
	s_mov_b32 s1, 0x3f4745d1
	ds_read2_b64 v[12:15], v25 offset0:32 offset1:208
	s_mul_i32 s2, s9, 0x1600
	s_mul_hi_u32 s3, s8, 0x1600
	s_add_i32 s3, s3, s2
	s_mul_i32 s2, s8, 0x1600
	s_waitcnt lgkmcnt(3)
	v_mul_f32_e32 v18, v72, v1
	v_mul_f32_e32 v19, v72, v0
	;; [unrolled: 1-line block ×4, first 2 shown]
	s_waitcnt lgkmcnt(2)
	v_mul_f32_e32 v22, v74, v5
	v_mul_f32_e32 v23, v74, v4
	;; [unrolled: 1-line block ×4, first 2 shown]
	v_fmac_f32_e32 v18, v71, v0
	v_fma_f32 v1, v71, v1, -v19
	v_fmac_f32_e32 v20, v69, v2
	v_fma_f32 v3, v69, v3, -v21
	;; [unrolled: 2-line block ×4, first 2 shown]
	s_waitcnt lgkmcnt(1)
	v_sub_f32_e32 v0, v8, v18
	v_sub_f32_e32 v1, v9, v1
	;; [unrolled: 1-line block ×4, first 2 shown]
	s_waitcnt lgkmcnt(0)
	v_sub_f32_e32 v4, v12, v22
	v_sub_f32_e32 v5, v13, v5
	;; [unrolled: 1-line block ×4, first 2 shown]
	v_fma_f32 v8, v8, 2.0, -v0
	v_fma_f32 v9, v9, 2.0, -v1
	;; [unrolled: 1-line block ×8, first 2 shown]
	ds_write_b64 v80, v[0:1] offset:5632
	ds_write2_b64 v80, v[8:9], v[10:11] offset1:176
	ds_write2_b64 v17, v[2:3], v[4:5] offset0:48 offset1:224
	ds_write2_b64 v25, v[12:13], v[14:15] offset0:32 offset1:208
	ds_write_b64 v80, v[6:7] offset:9856
	s_waitcnt lgkmcnt(0)
	s_barrier
	buffer_gl0_inv
	ds_read2_b64 v[0:3], v80 offset1:176
	ds_read2_b64 v[4:7], v16 offset0:64 offset1:240
	v_mad_u64_u32 v[8:9], null, s10, v44, 0
	v_mad_u64_u32 v[10:11], null, s8, v79, 0
	;; [unrolled: 1-line block ×4, first 2 shown]
	s_waitcnt lgkmcnt(1)
	v_mul_f32_e32 v14, v54, v1
	v_mul_f32_e32 v9, v54, v0
	s_waitcnt lgkmcnt(0)
	v_mul_f32_e32 v15, v56, v5
	v_fmac_f32_e32 v14, v53, v0
	v_fma_f32 v16, v53, v1, -v9
	v_fmac_f32_e32 v15, v55, v4
	v_mov_b32_e32 v9, v12
	v_mov_b32_e32 v11, v13
	v_cvt_f64_f32_e32 v[0:1], v14
	v_cvt_f64_f32_e32 v[16:17], v16
	;; [unrolled: 1-line block ×3, first 2 shown]
	v_lshlrev_b64 v[20:21], 3, v[8:9]
	v_lshlrev_b64 v[22:23], 3, v[10:11]
	ds_read2_b64 v[8:11], v25 offset0:32 offset1:208
	ds_read2_b64 v[12:15], v24 offset0:32 offset1:208
	v_mul_f32_e32 v4, v56, v4
	v_mul_f32_e32 v24, v41, v3
	v_add_co_u32 v20, vcc_lo, s4, v20
	v_add_co_ci_u32_e32 v21, vcc_lo, s5, v21, vcc_lo
	v_fma_f32 v25, v55, v5, -v4
	v_fmac_f32_e32 v24, v40, v2
	v_mul_f32_e32 v2, v41, v2
	v_add_co_u32 v4, vcc_lo, v20, v22
	v_add_co_ci_u32_e32 v5, vcc_lo, v21, v23, vcc_lo
	v_cvt_f64_f32_e32 v[20:21], v25
	v_cvt_f64_f32_e32 v[22:23], v24
	v_mul_f64 v[0:1], v[0:1], s[0:1]
	v_mul_f64 v[16:17], v[16:17], s[0:1]
	;; [unrolled: 1-line block ×3, first 2 shown]
	s_waitcnt lgkmcnt(0)
	v_mul_f32_e32 v28, v43, v13
	v_mul_f32_e32 v24, v48, v7
	;; [unrolled: 1-line block ×3, first 2 shown]
	v_fma_f32 v2, v40, v3, -v2
	v_mul_f32_e32 v26, v46, v9
	v_fmac_f32_e32 v28, v42, v12
	v_mul_f32_e32 v27, v46, v8
	v_mul_f32_e32 v12, v43, v12
	v_fmac_f32_e32 v24, v47, v6
	v_fma_f32 v25, v47, v7, -v25
	v_cvt_f64_f32_e32 v[2:3], v2
	v_mul_f32_e32 v29, v52, v15
	v_mul_f32_e32 v30, v52, v14
	v_fmac_f32_e32 v26, v45, v8
	v_fma_f32 v27, v45, v9, -v27
	v_fma_f32 v12, v42, v13, -v12
	v_cvt_f64_f32_e32 v[6:7], v24
	v_cvt_f64_f32_e32 v[8:9], v25
	v_fmac_f32_e32 v29, v51, v14
	v_cvt_f32_f64_e32 v0, v[0:1]
	v_cvt_f32_f64_e32 v1, v[16:17]
	;; [unrolled: 1-line block ×3, first 2 shown]
	v_cvt_f64_f32_e32 v[18:19], v28
	v_mul_f32_e32 v17, v50, v11
	v_mul_f32_e32 v28, v50, v10
	v_fma_f32 v30, v51, v15, -v30
	v_cvt_f64_f32_e32 v[24:25], v26
	v_cvt_f64_f32_e32 v[26:27], v27
	v_fmac_f32_e32 v17, v49, v10
	v_fma_f32 v28, v49, v11, -v28
	v_cvt_f64_f32_e32 v[10:11], v12
	v_cvt_f64_f32_e32 v[30:31], v30
	v_mul_f64 v[20:21], v[20:21], s[0:1]
	v_cvt_f64_f32_e32 v[12:13], v17
	v_cvt_f64_f32_e32 v[14:15], v28
	;; [unrolled: 1-line block ×3, first 2 shown]
	v_mul_f64 v[22:23], v[22:23], s[0:1]
	v_mul_f64 v[2:3], v[2:3], s[0:1]
	;; [unrolled: 1-line block ×4, first 2 shown]
	s_mul_hi_u32 s5, s8, 0xffffef80
	s_mul_i32 s4, s9, 0xffffef80
	global_store_dwordx2 v[4:5], v[0:1], off
	v_mul_f64 v[18:19], v[18:19], s[0:1]
	v_mul_f64 v[24:25], v[24:25], s[0:1]
	;; [unrolled: 1-line block ×5, first 2 shown]
	v_cvt_f32_f64_e32 v17, v[20:21]
	v_mul_f64 v[12:13], v[12:13], s[0:1]
	v_mul_f64 v[14:15], v[14:15], s[0:1]
	;; [unrolled: 1-line block ×3, first 2 shown]
	v_add_co_u32 v20, vcc_lo, v4, s2
	v_add_co_ci_u32_e32 v21, vcc_lo, s3, v5, vcc_lo
	s_sub_i32 s0, s5, s8
	s_mul_i32 s1, s8, 0xffffef80
	v_cvt_f32_f64_e32 v22, v[22:23]
	v_cvt_f32_f64_e32 v23, v[2:3]
	s_add_i32 s0, s0, s4
	v_add_co_u32 v2, vcc_lo, v20, s1
	v_add_co_ci_u32_e32 v3, vcc_lo, s0, v21, vcc_lo
	v_cvt_f32_f64_e32 v6, v[6:7]
	v_cvt_f32_f64_e32 v7, v[8:9]
	v_add_co_u32 v8, vcc_lo, v2, s2
	v_add_co_ci_u32_e32 v9, vcc_lo, s3, v3, vcc_lo
	v_cvt_f32_f64_e32 v24, v[24:25]
	v_cvt_f32_f64_e32 v25, v[26:27]
	v_cvt_f32_f64_e32 v18, v[18:19]
	v_cvt_f32_f64_e32 v19, v[10:11]
	v_cvt_f32_f64_e32 v10, v[12:13]
	v_cvt_f32_f64_e32 v11, v[14:15]
	v_cvt_f32_f64_e32 v12, v[28:29]
	v_cvt_f32_f64_e32 v13, v[30:31]
	v_add_co_u32 v14, vcc_lo, v8, s1
	v_add_co_ci_u32_e32 v15, vcc_lo, s0, v9, vcc_lo
	global_store_dwordx2 v[20:21], v[16:17], off
	v_add_co_u32 v0, vcc_lo, v14, s2
	v_add_co_ci_u32_e32 v1, vcc_lo, s3, v15, vcc_lo
	global_store_dwordx2 v[2:3], v[22:23], off
	v_add_co_u32 v4, vcc_lo, v0, s1
	v_add_co_ci_u32_e32 v5, vcc_lo, s0, v1, vcc_lo
	v_add_co_u32 v2, vcc_lo, v4, s2
	v_add_co_ci_u32_e32 v3, vcc_lo, s3, v5, vcc_lo
	global_store_dwordx2 v[8:9], v[6:7], off
	global_store_dwordx2 v[14:15], v[24:25], off
	global_store_dwordx2 v[0:1], v[18:19], off
	global_store_dwordx2 v[4:5], v[10:11], off
	global_store_dwordx2 v[2:3], v[12:13], off
.LBB0_10:
	s_endpgm
	.section	.rodata,"a",@progbits
	.p2align	6, 0x0
	.amdhsa_kernel bluestein_single_fwd_len1408_dim1_sp_op_CI_CI
		.amdhsa_group_segment_fixed_size 11264
		.amdhsa_private_segment_fixed_size 0
		.amdhsa_kernarg_size 104
		.amdhsa_user_sgpr_count 6
		.amdhsa_user_sgpr_private_segment_buffer 1
		.amdhsa_user_sgpr_dispatch_ptr 0
		.amdhsa_user_sgpr_queue_ptr 0
		.amdhsa_user_sgpr_kernarg_segment_ptr 1
		.amdhsa_user_sgpr_dispatch_id 0
		.amdhsa_user_sgpr_flat_scratch_init 0
		.amdhsa_user_sgpr_private_segment_size 0
		.amdhsa_wavefront_size32 1
		.amdhsa_uses_dynamic_stack 0
		.amdhsa_system_sgpr_private_segment_wavefront_offset 0
		.amdhsa_system_sgpr_workgroup_id_x 1
		.amdhsa_system_sgpr_workgroup_id_y 0
		.amdhsa_system_sgpr_workgroup_id_z 0
		.amdhsa_system_sgpr_workgroup_info 0
		.amdhsa_system_vgpr_workitem_id 0
		.amdhsa_next_free_vgpr 202
		.amdhsa_next_free_sgpr 20
		.amdhsa_reserve_vcc 1
		.amdhsa_reserve_flat_scratch 0
		.amdhsa_float_round_mode_32 0
		.amdhsa_float_round_mode_16_64 0
		.amdhsa_float_denorm_mode_32 3
		.amdhsa_float_denorm_mode_16_64 3
		.amdhsa_dx10_clamp 1
		.amdhsa_ieee_mode 1
		.amdhsa_fp16_overflow 0
		.amdhsa_workgroup_processor_mode 1
		.amdhsa_memory_ordered 1
		.amdhsa_forward_progress 0
		.amdhsa_shared_vgpr_count 0
		.amdhsa_exception_fp_ieee_invalid_op 0
		.amdhsa_exception_fp_denorm_src 0
		.amdhsa_exception_fp_ieee_div_zero 0
		.amdhsa_exception_fp_ieee_overflow 0
		.amdhsa_exception_fp_ieee_underflow 0
		.amdhsa_exception_fp_ieee_inexact 0
		.amdhsa_exception_int_div_zero 0
	.end_amdhsa_kernel
	.text
.Lfunc_end0:
	.size	bluestein_single_fwd_len1408_dim1_sp_op_CI_CI, .Lfunc_end0-bluestein_single_fwd_len1408_dim1_sp_op_CI_CI
                                        ; -- End function
	.section	.AMDGPU.csdata,"",@progbits
; Kernel info:
; codeLenInByte = 11164
; NumSgprs: 22
; NumVgprs: 202
; ScratchSize: 0
; MemoryBound: 0
; FloatMode: 240
; IeeeMode: 1
; LDSByteSize: 11264 bytes/workgroup (compile time only)
; SGPRBlocks: 2
; VGPRBlocks: 25
; NumSGPRsForWavesPerEU: 22
; NumVGPRsForWavesPerEU: 202
; Occupancy: 4
; WaveLimiterHint : 1
; COMPUTE_PGM_RSRC2:SCRATCH_EN: 0
; COMPUTE_PGM_RSRC2:USER_SGPR: 6
; COMPUTE_PGM_RSRC2:TRAP_HANDLER: 0
; COMPUTE_PGM_RSRC2:TGID_X_EN: 1
; COMPUTE_PGM_RSRC2:TGID_Y_EN: 0
; COMPUTE_PGM_RSRC2:TGID_Z_EN: 0
; COMPUTE_PGM_RSRC2:TIDIG_COMP_CNT: 0
	.text
	.p2alignl 6, 3214868480
	.fill 48, 4, 3214868480
	.type	__hip_cuid_ec5fd1dd9c63fbd2,@object ; @__hip_cuid_ec5fd1dd9c63fbd2
	.section	.bss,"aw",@nobits
	.globl	__hip_cuid_ec5fd1dd9c63fbd2
__hip_cuid_ec5fd1dd9c63fbd2:
	.byte	0                               ; 0x0
	.size	__hip_cuid_ec5fd1dd9c63fbd2, 1

	.ident	"AMD clang version 19.0.0git (https://github.com/RadeonOpenCompute/llvm-project roc-6.4.0 25133 c7fe45cf4b819c5991fe208aaa96edf142730f1d)"
	.section	".note.GNU-stack","",@progbits
	.addrsig
	.addrsig_sym __hip_cuid_ec5fd1dd9c63fbd2
	.amdgpu_metadata
---
amdhsa.kernels:
  - .args:
      - .actual_access:  read_only
        .address_space:  global
        .offset:         0
        .size:           8
        .value_kind:     global_buffer
      - .actual_access:  read_only
        .address_space:  global
        .offset:         8
        .size:           8
        .value_kind:     global_buffer
      - .actual_access:  read_only
        .address_space:  global
        .offset:         16
        .size:           8
        .value_kind:     global_buffer
      - .actual_access:  read_only
        .address_space:  global
        .offset:         24
        .size:           8
        .value_kind:     global_buffer
      - .actual_access:  read_only
        .address_space:  global
        .offset:         32
        .size:           8
        .value_kind:     global_buffer
      - .offset:         40
        .size:           8
        .value_kind:     by_value
      - .address_space:  global
        .offset:         48
        .size:           8
        .value_kind:     global_buffer
      - .address_space:  global
        .offset:         56
        .size:           8
        .value_kind:     global_buffer
      - .address_space:  global
        .offset:         64
        .size:           8
        .value_kind:     global_buffer
      - .address_space:  global
        .offset:         72
        .size:           8
        .value_kind:     global_buffer
      - .offset:         80
        .size:           4
        .value_kind:     by_value
      - .address_space:  global
        .offset:         88
        .size:           8
        .value_kind:     global_buffer
      - .address_space:  global
        .offset:         96
        .size:           8
        .value_kind:     global_buffer
    .group_segment_fixed_size: 11264
    .kernarg_segment_align: 8
    .kernarg_segment_size: 104
    .language:       OpenCL C
    .language_version:
      - 2
      - 0
    .max_flat_workgroup_size: 176
    .name:           bluestein_single_fwd_len1408_dim1_sp_op_CI_CI
    .private_segment_fixed_size: 0
    .sgpr_count:     22
    .sgpr_spill_count: 0
    .symbol:         bluestein_single_fwd_len1408_dim1_sp_op_CI_CI.kd
    .uniform_work_group_size: 1
    .uses_dynamic_stack: false
    .vgpr_count:     202
    .vgpr_spill_count: 0
    .wavefront_size: 32
    .workgroup_processor_mode: 1
amdhsa.target:   amdgcn-amd-amdhsa--gfx1030
amdhsa.version:
  - 1
  - 2
...

	.end_amdgpu_metadata
